;; amdgpu-corpus repo=zjin-lcf/HeCBench kind=compiled arch=gfx1100 opt=O3
	.text
	.amdgcn_target "amdgcn-amd-amdhsa--gfx1100"
	.amdhsa_code_object_version 6
	.protected	_Z16tensor_transposeiiiiPKiS0_PKfS2_S0_S0_S0_PKdPd ; -- Begin function _Z16tensor_transposeiiiiPKiS0_PKfS2_S0_S0_S0_PKdPd
	.globl	_Z16tensor_transposeiiiiPKiS0_PKfS2_S0_S0_S0_PKdPd
	.p2align	8
	.type	_Z16tensor_transposeiiiiPKiS0_PKfS2_S0_S0_S0_PKdPd,@function
_Z16tensor_transposeiiiiPKiS0_PKfS2_S0_S0_S0_PKdPd: ; @_Z16tensor_transposeiiiiPKiS0_PKfS2_S0_S0_S0_PKdPd
; %bb.0:
	s_load_b128 s[4:7], s[0:1], 0x0
	s_waitcnt lgkmcnt(0)
	s_cmp_ge_i32 s15, s6
	s_cbranch_scc1 .LBB0_16
; %bb.1:
	s_clause 0x2
	s_load_b32 s3, s[0:1], 0x58
	s_load_b64 s[8:9], s[0:1], 0x50
	s_load_b512 s[16:31], s[0:1], 0x10
	s_cmp_gt_i32 s4, 0
	v_cmp_gt_i32_e64 s2, s7, v0
	s_cselect_b32 s14, -1, 0
	s_add_u32 s10, s0, 0x58
	s_addc_u32 s11, s1, 0
	v_lshlrev_b32_e32 v3, 3, v0
	s_cmp_gt_i32 s5, 0
	s_mul_i32 s38, s15, s7
	s_cselect_b32 s33, -1, 0
	s_waitcnt lgkmcnt(0)
	s_mul_i32 s39, s3, s7
	s_branch .LBB0_3
.LBB0_2:                                ;   in Loop: Header=BB0_3 Depth=1
	s_or_b32 exec_lo, exec_lo, s40
	s_add_i32 s15, s3, s15
	s_add_i32 s38, s38, s39
	s_cmp_ge_i32 s15, s6
	s_waitcnt_vscnt null, 0x0
	s_barrier
	buffer_gl0_inv
	s_cbranch_scc1 .LBB0_16
.LBB0_3:                                ; =>This Loop Header: Depth=1
                                        ;     Child Loop BB0_5 Depth 2
                                        ;     Child Loop BB0_9 Depth 2
	;; [unrolled: 1-line block ×3, first 2 shown]
                                        ;       Child Loop BB0_15 Depth 3
	s_and_not1_b32 vcc_lo, exec_lo, s14
	s_cbranch_vccnz .LBB0_7
; %bb.4:                                ;   in Loop: Header=BB0_3 Depth=1
	v_dual_mov_b32 v1, s15 :: v_dual_mov_b32 v4, 0
	s_mov_b64 s[0:1], s[16:17]
	s_mov_b64 s[12:13], s[24:25]
	s_mov_b64 s[34:35], s[20:21]
	s_mov_b32 s36, s4
	.p2align	6
.LBB0_5:                                ;   Parent Loop BB0_3 Depth=1
                                        ; =>  This Inner Loop Header: Depth=2
	s_load_b32 s37, s[34:35], 0x0
	s_load_b32 s40, s[0:1], 0x0
	s_delay_alu instid0(VALU_DEP_1)
	v_cvt_f32_i32_e32 v2, v1
	s_add_i32 s36, s36, -1
	s_add_u32 s34, s34, 4
	s_addc_u32 s35, s35, 0
	s_waitcnt lgkmcnt(0)
	v_mul_f32_e32 v2, s37, v2
	s_load_b32 s37, s[12:13], 0x0
	s_add_u32 s12, s12, 4
	s_addc_u32 s13, s13, 0
	s_add_u32 s0, s0, 4
	v_cvt_i32_f32_e32 v2, v2
	s_addc_u32 s1, s1, 0
	s_cmp_eq_u32 s36, 0
	s_delay_alu instid0(VALU_DEP_1) | instskip(NEXT) | instid1(VALU_DEP_1)
	v_mul_lo_u32 v5, s40, v2
	v_sub_nc_u32_e32 v1, v1, v5
	s_waitcnt lgkmcnt(0)
	s_delay_alu instid0(VALU_DEP_1) | instskip(NEXT) | instid1(VALU_DEP_1)
	v_mul_lo_u32 v5, v1, s37
	v_dual_mov_b32 v1, v2 :: v_dual_add_nc_u32 v4, v5, v4
	s_cbranch_scc0 .LBB0_5
; %bb.6:                                ;   in Loop: Header=BB0_3 Depth=1
	s_and_saveexec_b32 s0, s2
	s_cbranch_execnz .LBB0_8
	s_branch .LBB0_10
.LBB0_7:                                ;   in Loop: Header=BB0_3 Depth=1
	v_mov_b32_e32 v4, 0
	s_and_saveexec_b32 s0, s2
	s_cbranch_execz .LBB0_10
.LBB0_8:                                ;   in Loop: Header=BB0_3 Depth=1
	s_load_b32 s1, s[10:11], 0xc
	v_dual_mov_b32 v1, v3 :: v_dual_mov_b32 v2, v0
	s_mov_b32 s13, 0
	s_waitcnt lgkmcnt(0)
	s_and_b32 s1, s1, 0xffff
	s_delay_alu instid0(SALU_CYCLE_1)
	s_lshl_b32 s12, s1, 3
	.p2align	6
.LBB0_9:                                ;   Parent Loop BB0_3 Depth=1
                                        ; =>  This Inner Loop Header: Depth=2
	v_add_nc_u32_e32 v5, s38, v2
	v_add_nc_u32_e32 v2, s1, v2
	s_delay_alu instid0(VALU_DEP_2) | instskip(NEXT) | instid1(VALU_DEP_1)
	v_ashrrev_i32_e32 v6, 31, v5
	v_lshlrev_b64 v[5:6], 3, v[5:6]
	s_delay_alu instid0(VALU_DEP_1) | instskip(NEXT) | instid1(VALU_DEP_2)
	v_add_co_u32 v5, vcc_lo, s30, v5
	v_add_co_ci_u32_e32 v6, vcc_lo, s31, v6, vcc_lo
	v_cmp_le_i32_e32 vcc_lo, s7, v2
	global_load_b64 v[5:6], v[5:6], off
	s_or_b32 s13, vcc_lo, s13
	s_waitcnt vmcnt(0)
	ds_store_b64 v1, v[5:6]
	v_add_nc_u32_e32 v1, s12, v1
	s_and_not1_b32 exec_lo, exec_lo, s13
	s_cbranch_execnz .LBB0_9
.LBB0_10:                               ;   in Loop: Header=BB0_3 Depth=1
	s_or_b32 exec_lo, exec_lo, s0
	s_waitcnt lgkmcnt(0)
	s_barrier
	buffer_gl0_inv
	s_and_saveexec_b32 s40, s2
	s_cbranch_execz .LBB0_2
; %bb.11:                               ;   in Loop: Header=BB0_3 Depth=1
	s_load_b32 s0, s[10:11], 0xc
	v_mov_b32_e32 v5, v0
	s_mov_b32 s42, 0
	s_waitcnt lgkmcnt(0)
	s_and_b32 s41, s0, 0xffff
	s_branch .LBB0_13
.LBB0_12:                               ;   in Loop: Header=BB0_13 Depth=2
	s_set_inst_prefetch_distance 0x2
	s_delay_alu instid0(VALU_DEP_1)
	v_lshlrev_b32_e32 v6, 3, v1
	v_add_nc_u32_e32 v1, v2, v4
	v_add_nc_u32_e32 v5, s41, v5
	ds_load_b64 v[6:7], v6
	v_ashrrev_i32_e32 v2, 31, v1
	v_cmp_le_i32_e32 vcc_lo, s7, v5
	s_delay_alu instid0(VALU_DEP_2) | instskip(SKIP_1) | instid1(VALU_DEP_1)
	v_lshlrev_b64 v[1:2], 3, v[1:2]
	s_or_b32 s42, vcc_lo, s42
	v_add_co_u32 v1, s0, s8, v1
	s_delay_alu instid0(VALU_DEP_1)
	v_add_co_ci_u32_e64 v2, s0, s9, v2, s0
	s_waitcnt lgkmcnt(0)
	global_store_b64 v[1:2], v[6:7], off
	s_and_not1_b32 exec_lo, exec_lo, s42
	s_cbranch_execz .LBB0_2
.LBB0_13:                               ;   Parent Loop BB0_3 Depth=1
                                        ; =>  This Loop Header: Depth=2
                                        ;       Child Loop BB0_15 Depth 3
	v_dual_mov_b32 v1, 0 :: v_dual_mov_b32 v2, 0
	s_and_not1_b32 vcc_lo, exec_lo, s33
	s_cbranch_vccnz .LBB0_12
; %bb.14:                               ;   in Loop: Header=BB0_13 Depth=2
	v_dual_mov_b32 v1, 0 :: v_dual_mov_b32 v2, 0
	v_mov_b32_e32 v6, v5
	s_mov_b64 s[0:1], s[26:27]
	s_mov_b64 s[12:13], s[28:29]
	;; [unrolled: 1-line block ×4, first 2 shown]
	s_mov_b32 s43, s5
	s_set_inst_prefetch_distance 0x1
	.p2align	6
.LBB0_15:                               ;   Parent Loop BB0_3 Depth=1
                                        ;     Parent Loop BB0_13 Depth=2
                                        ; =>    This Inner Loop Header: Depth=3
	s_load_b32 s44, s[36:37], 0x0
	s_load_b32 s45, s[34:35], 0x0
	v_cvt_f32_i32_e32 v7, v6
	s_add_i32 s43, s43, -1
	s_add_u32 s36, s36, 4
	s_addc_u32 s37, s37, 0
	s_add_u32 s34, s34, 4
	s_addc_u32 s35, s35, 0
	s_waitcnt lgkmcnt(0)
	v_mul_f32_e32 v7, s44, v7
	s_load_b32 s44, s[12:13], 0x0
	s_load_b32 s46, s[0:1], 0x0
	s_add_u32 s12, s12, 4
	s_addc_u32 s13, s13, 0
	s_add_u32 s0, s0, 4
	v_cvt_i32_f32_e32 v10, v7
	s_addc_u32 s1, s1, 0
	s_cmp_eq_u32 s43, 0
	s_delay_alu instid0(VALU_DEP_1) | instskip(NEXT) | instid1(VALU_DEP_1)
	v_mul_lo_u32 v7, s45, v10
	v_sub_nc_u32_e32 v6, v6, v7
	s_waitcnt lgkmcnt(0)
	s_delay_alu instid0(VALU_DEP_1) | instskip(SKIP_2) | instid1(VALU_DEP_2)
	v_mad_u64_u32 v[7:8], null, v6, s44, v[2:3]
	v_mad_u64_u32 v[8:9], null, v6, s46, v[1:2]
	v_mov_b32_e32 v6, v10
	v_dual_mov_b32 v2, v7 :: v_dual_mov_b32 v1, v8
	s_cbranch_scc0 .LBB0_15
	s_branch .LBB0_12
.LBB0_16:
	s_endpgm
	.section	.rodata,"a",@progbits
	.p2align	6, 0x0
	.amdhsa_kernel _Z16tensor_transposeiiiiPKiS0_PKfS2_S0_S0_S0_PKdPd
		.amdhsa_group_segment_fixed_size 47200
		.amdhsa_private_segment_fixed_size 0
		.amdhsa_kernarg_size 344
		.amdhsa_user_sgpr_count 15
		.amdhsa_user_sgpr_dispatch_ptr 0
		.amdhsa_user_sgpr_queue_ptr 0
		.amdhsa_user_sgpr_kernarg_segment_ptr 1
		.amdhsa_user_sgpr_dispatch_id 0
		.amdhsa_user_sgpr_private_segment_size 0
		.amdhsa_wavefront_size32 1
		.amdhsa_uses_dynamic_stack 0
		.amdhsa_enable_private_segment 0
		.amdhsa_system_sgpr_workgroup_id_x 1
		.amdhsa_system_sgpr_workgroup_id_y 0
		.amdhsa_system_sgpr_workgroup_id_z 0
		.amdhsa_system_sgpr_workgroup_info 0
		.amdhsa_system_vgpr_workitem_id 0
		.amdhsa_next_free_vgpr 11
		.amdhsa_next_free_sgpr 47
		.amdhsa_reserve_vcc 1
		.amdhsa_float_round_mode_32 0
		.amdhsa_float_round_mode_16_64 0
		.amdhsa_float_denorm_mode_32 3
		.amdhsa_float_denorm_mode_16_64 3
		.amdhsa_dx10_clamp 1
		.amdhsa_ieee_mode 1
		.amdhsa_fp16_overflow 0
		.amdhsa_workgroup_processor_mode 1
		.amdhsa_memory_ordered 1
		.amdhsa_forward_progress 0
		.amdhsa_shared_vgpr_count 0
		.amdhsa_exception_fp_ieee_invalid_op 0
		.amdhsa_exception_fp_denorm_src 0
		.amdhsa_exception_fp_ieee_div_zero 0
		.amdhsa_exception_fp_ieee_overflow 0
		.amdhsa_exception_fp_ieee_underflow 0
		.amdhsa_exception_fp_ieee_inexact 0
		.amdhsa_exception_int_div_zero 0
	.end_amdhsa_kernel
	.text
.Lfunc_end0:
	.size	_Z16tensor_transposeiiiiPKiS0_PKfS2_S0_S0_S0_PKdPd, .Lfunc_end0-_Z16tensor_transposeiiiiPKiS0_PKfS2_S0_S0_S0_PKdPd
                                        ; -- End function
	.section	.AMDGPU.csdata,"",@progbits
; Kernel info:
; codeLenInByte = 792
; NumSgprs: 49
; NumVgprs: 11
; ScratchSize: 0
; MemoryBound: 0
; FloatMode: 240
; IeeeMode: 1
; LDSByteSize: 47200 bytes/workgroup (compile time only)
; SGPRBlocks: 6
; VGPRBlocks: 1
; NumSGPRsForWavesPerEU: 49
; NumVGPRsForWavesPerEU: 11
; Occupancy: 16
; WaveLimiterHint : 0
; COMPUTE_PGM_RSRC2:SCRATCH_EN: 0
; COMPUTE_PGM_RSRC2:USER_SGPR: 15
; COMPUTE_PGM_RSRC2:TRAP_HANDLER: 0
; COMPUTE_PGM_RSRC2:TGID_X_EN: 1
; COMPUTE_PGM_RSRC2:TGID_Y_EN: 0
; COMPUTE_PGM_RSRC2:TGID_Z_EN: 0
; COMPUTE_PGM_RSRC2:TIDIG_COMP_CNT: 0
	.text
	.p2alignl 7, 3214868480
	.fill 96, 4, 3214868480
	.type	__hip_cuid_21aaf1e0b682306b,@object ; @__hip_cuid_21aaf1e0b682306b
	.section	.bss,"aw",@nobits
	.globl	__hip_cuid_21aaf1e0b682306b
__hip_cuid_21aaf1e0b682306b:
	.byte	0                               ; 0x0
	.size	__hip_cuid_21aaf1e0b682306b, 1

	.ident	"AMD clang version 19.0.0git (https://github.com/RadeonOpenCompute/llvm-project roc-6.4.0 25133 c7fe45cf4b819c5991fe208aaa96edf142730f1d)"
	.section	".note.GNU-stack","",@progbits
	.addrsig
	.addrsig_sym __hip_cuid_21aaf1e0b682306b
	.amdgpu_metadata
---
amdhsa.kernels:
  - .args:
      - .offset:         0
        .size:           4
        .value_kind:     by_value
      - .offset:         4
        .size:           4
        .value_kind:     by_value
      - .offset:         8
        .size:           4
        .value_kind:     by_value
      - .offset:         12
        .size:           4
        .value_kind:     by_value
      - .address_space:  global
        .offset:         16
        .size:           8
        .value_kind:     global_buffer
      - .address_space:  global
        .offset:         24
        .size:           8
        .value_kind:     global_buffer
      - .address_space:  global
        .offset:         32
        .size:           8
        .value_kind:     global_buffer
      - .address_space:  global
        .offset:         40
        .size:           8
        .value_kind:     global_buffer
      - .address_space:  global
        .offset:         48
        .size:           8
        .value_kind:     global_buffer
      - .address_space:  global
        .offset:         56
        .size:           8
        .value_kind:     global_buffer
      - .address_space:  global
        .offset:         64
        .size:           8
        .value_kind:     global_buffer
      - .address_space:  global
        .offset:         72
        .size:           8
        .value_kind:     global_buffer
      - .address_space:  global
        .offset:         80
        .size:           8
        .value_kind:     global_buffer
      - .offset:         88
        .size:           4
        .value_kind:     hidden_block_count_x
      - .offset:         92
        .size:           4
        .value_kind:     hidden_block_count_y
      - .offset:         96
        .size:           4
        .value_kind:     hidden_block_count_z
      - .offset:         100
        .size:           2
        .value_kind:     hidden_group_size_x
      - .offset:         102
        .size:           2
        .value_kind:     hidden_group_size_y
      - .offset:         104
        .size:           2
        .value_kind:     hidden_group_size_z
      - .offset:         106
        .size:           2
        .value_kind:     hidden_remainder_x
      - .offset:         108
        .size:           2
        .value_kind:     hidden_remainder_y
      - .offset:         110
        .size:           2
        .value_kind:     hidden_remainder_z
      - .offset:         128
        .size:           8
        .value_kind:     hidden_global_offset_x
      - .offset:         136
        .size:           8
        .value_kind:     hidden_global_offset_y
      - .offset:         144
        .size:           8
        .value_kind:     hidden_global_offset_z
      - .offset:         152
        .size:           2
        .value_kind:     hidden_grid_dims
    .group_segment_fixed_size: 47200
    .kernarg_segment_align: 8
    .kernarg_segment_size: 344
    .language:       OpenCL C
    .language_version:
      - 2
      - 0
    .max_flat_workgroup_size: 1024
    .name:           _Z16tensor_transposeiiiiPKiS0_PKfS2_S0_S0_S0_PKdPd
    .private_segment_fixed_size: 0
    .sgpr_count:     49
    .sgpr_spill_count: 0
    .symbol:         _Z16tensor_transposeiiiiPKiS0_PKfS2_S0_S0_S0_PKdPd.kd
    .uniform_work_group_size: 1
    .uses_dynamic_stack: false
    .vgpr_count:     11
    .vgpr_spill_count: 0
    .wavefront_size: 32
    .workgroup_processor_mode: 1
amdhsa.target:   amdgcn-amd-amdhsa--gfx1100
amdhsa.version:
  - 1
  - 2
...

	.end_amdgpu_metadata
